;; amdgpu-corpus repo=ROCm/rocFFT kind=compiled arch=gfx1030 opt=O3
	.text
	.amdgcn_target "amdgcn-amd-amdhsa--gfx1030"
	.amdhsa_code_object_version 6
	.protected	fft_rtc_back_len882_factors_9_7_7_2_wgs_63_tpt_63_dp_ip_CI_sbrr_dirReg ; -- Begin function fft_rtc_back_len882_factors_9_7_7_2_wgs_63_tpt_63_dp_ip_CI_sbrr_dirReg
	.globl	fft_rtc_back_len882_factors_9_7_7_2_wgs_63_tpt_63_dp_ip_CI_sbrr_dirReg
	.p2align	8
	.type	fft_rtc_back_len882_factors_9_7_7_2_wgs_63_tpt_63_dp_ip_CI_sbrr_dirReg,@function
fft_rtc_back_len882_factors_9_7_7_2_wgs_63_tpt_63_dp_ip_CI_sbrr_dirReg: ; @fft_rtc_back_len882_factors_9_7_7_2_wgs_63_tpt_63_dp_ip_CI_sbrr_dirReg
; %bb.0:
	s_clause 0x2
	s_load_dwordx2 s[14:15], s[4:5], 0x18
	s_load_dwordx4 s[8:11], s[4:5], 0x0
	s_load_dwordx2 s[12:13], s[4:5], 0x50
	v_mul_u32_u24_e32 v1, 0x411, v0
	v_mov_b32_e32 v3, 0
	v_add_nc_u32_sdwa v5, s6, v1 dst_sel:DWORD dst_unused:UNUSED_PAD src0_sel:DWORD src1_sel:WORD_1
	v_mov_b32_e32 v1, 0
	v_mov_b32_e32 v6, v3
	v_mov_b32_e32 v2, 0
	s_waitcnt lgkmcnt(0)
	s_load_dwordx2 s[2:3], s[14:15], 0x0
	v_cmp_lt_u64_e64 s0, s[10:11], 2
	s_and_b32 vcc_lo, exec_lo, s0
	s_cbranch_vccnz .LBB0_8
; %bb.1:
	s_load_dwordx2 s[0:1], s[4:5], 0x10
	v_mov_b32_e32 v1, 0
	s_add_u32 s6, s14, 8
	v_mov_b32_e32 v2, 0
	s_addc_u32 s7, s15, 0
	s_mov_b64 s[18:19], 1
	s_waitcnt lgkmcnt(0)
	s_add_u32 s16, s0, 8
	s_addc_u32 s17, s1, 0
.LBB0_2:                                ; =>This Inner Loop Header: Depth=1
	s_load_dwordx2 s[20:21], s[16:17], 0x0
                                        ; implicit-def: $vgpr7_vgpr8
	s_mov_b32 s0, exec_lo
	s_waitcnt lgkmcnt(0)
	v_or_b32_e32 v4, s21, v6
	v_cmpx_ne_u64_e32 0, v[3:4]
	s_xor_b32 s1, exec_lo, s0
	s_cbranch_execz .LBB0_4
; %bb.3:                                ;   in Loop: Header=BB0_2 Depth=1
	v_cvt_f32_u32_e32 v4, s20
	v_cvt_f32_u32_e32 v7, s21
	s_sub_u32 s0, 0, s20
	s_subb_u32 s22, 0, s21
	v_fmac_f32_e32 v4, 0x4f800000, v7
	v_rcp_f32_e32 v4, v4
	v_mul_f32_e32 v4, 0x5f7ffffc, v4
	v_mul_f32_e32 v7, 0x2f800000, v4
	v_trunc_f32_e32 v7, v7
	v_fmac_f32_e32 v4, 0xcf800000, v7
	v_cvt_u32_f32_e32 v7, v7
	v_cvt_u32_f32_e32 v4, v4
	v_mul_lo_u32 v8, s0, v7
	v_mul_hi_u32 v9, s0, v4
	v_mul_lo_u32 v10, s22, v4
	v_add_nc_u32_e32 v8, v9, v8
	v_mul_lo_u32 v9, s0, v4
	v_add_nc_u32_e32 v8, v8, v10
	v_mul_hi_u32 v10, v4, v9
	v_mul_lo_u32 v11, v4, v8
	v_mul_hi_u32 v12, v4, v8
	v_mul_hi_u32 v13, v7, v9
	v_mul_lo_u32 v9, v7, v9
	v_mul_hi_u32 v14, v7, v8
	v_mul_lo_u32 v8, v7, v8
	v_add_co_u32 v10, vcc_lo, v10, v11
	v_add_co_ci_u32_e32 v11, vcc_lo, 0, v12, vcc_lo
	v_add_co_u32 v9, vcc_lo, v10, v9
	v_add_co_ci_u32_e32 v9, vcc_lo, v11, v13, vcc_lo
	v_add_co_ci_u32_e32 v10, vcc_lo, 0, v14, vcc_lo
	v_add_co_u32 v8, vcc_lo, v9, v8
	v_add_co_ci_u32_e32 v9, vcc_lo, 0, v10, vcc_lo
	v_add_co_u32 v4, vcc_lo, v4, v8
	v_add_co_ci_u32_e32 v7, vcc_lo, v7, v9, vcc_lo
	v_mul_hi_u32 v8, s0, v4
	v_mul_lo_u32 v10, s22, v4
	v_mul_lo_u32 v9, s0, v7
	v_add_nc_u32_e32 v8, v8, v9
	v_mul_lo_u32 v9, s0, v4
	v_add_nc_u32_e32 v8, v8, v10
	v_mul_hi_u32 v10, v4, v9
	v_mul_lo_u32 v11, v4, v8
	v_mul_hi_u32 v12, v4, v8
	v_mul_hi_u32 v13, v7, v9
	v_mul_lo_u32 v9, v7, v9
	v_mul_hi_u32 v14, v7, v8
	v_mul_lo_u32 v8, v7, v8
	v_add_co_u32 v10, vcc_lo, v10, v11
	v_add_co_ci_u32_e32 v11, vcc_lo, 0, v12, vcc_lo
	v_add_co_u32 v9, vcc_lo, v10, v9
	v_add_co_ci_u32_e32 v9, vcc_lo, v11, v13, vcc_lo
	v_add_co_ci_u32_e32 v10, vcc_lo, 0, v14, vcc_lo
	v_add_co_u32 v8, vcc_lo, v9, v8
	v_add_co_ci_u32_e32 v9, vcc_lo, 0, v10, vcc_lo
	v_add_co_u32 v4, vcc_lo, v4, v8
	v_add_co_ci_u32_e32 v11, vcc_lo, v7, v9, vcc_lo
	v_mul_hi_u32 v13, v5, v4
	v_mad_u64_u32 v[9:10], null, v6, v4, 0
	v_mad_u64_u32 v[7:8], null, v5, v11, 0
	;; [unrolled: 1-line block ×3, first 2 shown]
	v_add_co_u32 v4, vcc_lo, v13, v7
	v_add_co_ci_u32_e32 v7, vcc_lo, 0, v8, vcc_lo
	v_add_co_u32 v4, vcc_lo, v4, v9
	v_add_co_ci_u32_e32 v4, vcc_lo, v7, v10, vcc_lo
	v_add_co_ci_u32_e32 v7, vcc_lo, 0, v12, vcc_lo
	v_add_co_u32 v4, vcc_lo, v4, v11
	v_add_co_ci_u32_e32 v9, vcc_lo, 0, v7, vcc_lo
	v_mul_lo_u32 v10, s21, v4
	v_mad_u64_u32 v[7:8], null, s20, v4, 0
	v_mul_lo_u32 v11, s20, v9
	v_sub_co_u32 v7, vcc_lo, v5, v7
	v_add3_u32 v8, v8, v11, v10
	v_sub_nc_u32_e32 v10, v6, v8
	v_subrev_co_ci_u32_e64 v10, s0, s21, v10, vcc_lo
	v_add_co_u32 v11, s0, v4, 2
	v_add_co_ci_u32_e64 v12, s0, 0, v9, s0
	v_sub_co_u32 v13, s0, v7, s20
	v_sub_co_ci_u32_e32 v8, vcc_lo, v6, v8, vcc_lo
	v_subrev_co_ci_u32_e64 v10, s0, 0, v10, s0
	v_cmp_le_u32_e32 vcc_lo, s20, v13
	v_cmp_eq_u32_e64 s0, s21, v8
	v_cndmask_b32_e64 v13, 0, -1, vcc_lo
	v_cmp_le_u32_e32 vcc_lo, s21, v10
	v_cndmask_b32_e64 v14, 0, -1, vcc_lo
	v_cmp_le_u32_e32 vcc_lo, s20, v7
	;; [unrolled: 2-line block ×3, first 2 shown]
	v_cndmask_b32_e64 v15, 0, -1, vcc_lo
	v_cmp_eq_u32_e32 vcc_lo, s21, v10
	v_cndmask_b32_e64 v7, v15, v7, s0
	v_cndmask_b32_e32 v10, v14, v13, vcc_lo
	v_add_co_u32 v13, vcc_lo, v4, 1
	v_add_co_ci_u32_e32 v14, vcc_lo, 0, v9, vcc_lo
	v_cmp_ne_u32_e32 vcc_lo, 0, v10
	v_cndmask_b32_e32 v8, v14, v12, vcc_lo
	v_cndmask_b32_e32 v10, v13, v11, vcc_lo
	v_cmp_ne_u32_e32 vcc_lo, 0, v7
	v_cndmask_b32_e32 v8, v9, v8, vcc_lo
	v_cndmask_b32_e32 v7, v4, v10, vcc_lo
.LBB0_4:                                ;   in Loop: Header=BB0_2 Depth=1
	s_andn2_saveexec_b32 s0, s1
	s_cbranch_execz .LBB0_6
; %bb.5:                                ;   in Loop: Header=BB0_2 Depth=1
	v_cvt_f32_u32_e32 v4, s20
	s_sub_i32 s1, 0, s20
	v_rcp_iflag_f32_e32 v4, v4
	v_mul_f32_e32 v4, 0x4f7ffffe, v4
	v_cvt_u32_f32_e32 v4, v4
	v_mul_lo_u32 v7, s1, v4
	v_mul_hi_u32 v7, v4, v7
	v_add_nc_u32_e32 v4, v4, v7
	v_mul_hi_u32 v4, v5, v4
	v_mul_lo_u32 v7, v4, s20
	v_add_nc_u32_e32 v8, 1, v4
	v_sub_nc_u32_e32 v7, v5, v7
	v_subrev_nc_u32_e32 v9, s20, v7
	v_cmp_le_u32_e32 vcc_lo, s20, v7
	v_cndmask_b32_e32 v7, v7, v9, vcc_lo
	v_cndmask_b32_e32 v4, v4, v8, vcc_lo
	v_cmp_le_u32_e32 vcc_lo, s20, v7
	v_add_nc_u32_e32 v8, 1, v4
	v_cndmask_b32_e32 v7, v4, v8, vcc_lo
	v_mov_b32_e32 v8, v3
.LBB0_6:                                ;   in Loop: Header=BB0_2 Depth=1
	s_or_b32 exec_lo, exec_lo, s0
	s_load_dwordx2 s[0:1], s[6:7], 0x0
	v_mul_lo_u32 v4, v8, s20
	v_mul_lo_u32 v11, v7, s21
	v_mad_u64_u32 v[9:10], null, v7, s20, 0
	s_add_u32 s18, s18, 1
	s_addc_u32 s19, s19, 0
	s_add_u32 s6, s6, 8
	s_addc_u32 s7, s7, 0
	;; [unrolled: 2-line block ×3, first 2 shown]
	v_add3_u32 v4, v10, v11, v4
	v_sub_co_u32 v5, vcc_lo, v5, v9
	v_sub_co_ci_u32_e32 v4, vcc_lo, v6, v4, vcc_lo
	s_waitcnt lgkmcnt(0)
	v_mul_lo_u32 v6, s1, v5
	v_mul_lo_u32 v4, s0, v4
	v_mad_u64_u32 v[1:2], null, s0, v5, v[1:2]
	v_cmp_ge_u64_e64 s0, s[18:19], s[10:11]
	s_and_b32 vcc_lo, exec_lo, s0
	v_add3_u32 v2, v6, v2, v4
	s_cbranch_vccnz .LBB0_9
; %bb.7:                                ;   in Loop: Header=BB0_2 Depth=1
	v_mov_b32_e32 v5, v7
	v_mov_b32_e32 v6, v8
	s_branch .LBB0_2
.LBB0_8:
	v_mov_b32_e32 v8, v6
	v_mov_b32_e32 v7, v5
.LBB0_9:
	s_lshl_b64 s[0:1], s[10:11], 3
	v_mul_hi_u32 v3, 0x4104105, v0
	s_add_u32 s0, s14, s0
	s_addc_u32 s1, s15, s1
                                        ; implicit-def: $vgpr100
	s_load_dwordx2 s[0:1], s[0:1], 0x0
	s_load_dwordx2 s[4:5], s[4:5], 0x20
	v_mul_u32_u24_e32 v3, 63, v3
	v_sub_nc_u32_e32 v96, v0, v3
	v_add_nc_u32_e32 v113, 63, v96
	s_waitcnt lgkmcnt(0)
	v_mul_lo_u32 v4, s0, v8
	v_mul_lo_u32 v5, s1, v7
	v_mad_u64_u32 v[1:2], null, s0, v7, v[1:2]
	v_cmp_gt_u64_e32 vcc_lo, s[4:5], v[7:8]
	v_cmp_le_u64_e64 s0, s[4:5], v[7:8]
	v_add3_u32 v2, v5, v2, v4
	s_and_saveexec_b32 s1, s0
	s_xor_b32 s0, exec_lo, s1
; %bb.10:
	v_add_nc_u32_e32 v100, 63, v96
; %bb.11:
	s_or_saveexec_b32 s1, s0
	v_lshlrev_b64 v[98:99], 4, v[1:2]
	v_lshl_add_u32 v102, v96, 4, 0
	v_add_nc_u32_e32 v114, 0x7e, v96
	v_add_nc_u32_e32 v115, 0xbd, v96
	;; [unrolled: 1-line block ×12, first 2 shown]
	s_xor_b32 exec_lo, exec_lo, s1
	s_cbranch_execz .LBB0_13
; %bb.12:
	v_mad_u64_u32 v[0:1], null, s2, v96, 0
	v_mad_u64_u32 v[2:3], null, s2, v113, 0
	;; [unrolled: 1-line block ×14, first 2 shown]
	v_mov_b32_e32 v3, v7
	v_mad_u64_u32 v[28:29], null, s2, v106, 0
	v_mov_b32_e32 v1, v8
	v_mad_u64_u32 v[7:8], null, s3, v114, v[5:6]
	v_mad_u64_u32 v[32:33], null, s3, v110, v[21:22]
	;; [unrolled: 1-line block ×5, first 2 shown]
	v_mov_b32_e32 v3, v9
	v_mov_b32_e32 v17, v30
	v_mad_u64_u32 v[36:37], null, s3, v109, v[25:26]
	v_mov_b32_e32 v19, v31
	v_mad_u64_u32 v[30:31], null, s2, v105, 0
	v_mad_u64_u32 v[37:38], null, s2, v103, 0
	v_lshlrev_b64 v[0:1], 4, v[0:1]
	v_add_co_u32 v52, s0, s12, v98
	v_mov_b32_e32 v21, v27
	v_mov_b32_e32 v23, v29
	v_add_co_ci_u32_e64 v53, s0, s13, v99, s0
	v_mov_b32_e32 v5, v7
	v_lshlrev_b64 v[2:3], 4, v[2:3]
	v_mov_b32_e32 v25, v35
	v_add_co_u32 v0, s0, v52, v0
	v_mov_b32_e32 v7, v10
	v_mad_u64_u32 v[39:40], null, s3, v107, v[21:22]
	v_mov_b32_e32 v21, v31
	v_mad_u64_u32 v[40:41], null, s3, v106, v[23:24]
	v_mov_b32_e32 v23, v38
	v_add_co_ci_u32_e64 v1, s0, v53, v1, s0
	v_lshlrev_b64 v[4:5], 4, v[4:5]
	v_add_co_u32 v8, s0, v52, v2
	v_mad_u64_u32 v[41:42], null, s3, v104, v[25:26]
	v_add_co_ci_u32_e64 v9, s0, v53, v3, s0
	v_lshlrev_b64 v[2:3], 4, v[6:7]
	v_mad_u64_u32 v[42:43], null, s3, v105, v[21:22]
	v_mad_u64_u32 v[43:44], null, s3, v103, v[23:24]
	v_add_co_u32 v10, s0, v52, v4
	v_lshlrev_b64 v[16:17], 4, v[16:17]
	v_mov_b32_e32 v21, v32
	v_add_co_ci_u32_e64 v11, s0, v53, v5, s0
	v_add_co_u32 v12, s0, v52, v2
	v_lshlrev_b64 v[18:19], 4, v[18:19]
	v_mov_b32_e32 v23, v33
	v_add_co_ci_u32_e64 v13, s0, v53, v3, s0
	v_mov_b32_e32 v35, v41
	v_mov_b32_e32 v38, v43
	v_lshlrev_b64 v[20:21], 4, v[20:21]
	v_add_co_u32 v16, s0, v52, v16
	v_mov_b32_e32 v25, v36
	v_add_co_ci_u32_e64 v17, s0, v53, v17, s0
	v_lshlrev_b64 v[22:23], 4, v[22:23]
	v_add_co_u32 v36, s0, v52, v18
	v_mov_b32_e32 v27, v39
	v_lshlrev_b64 v[32:33], 4, v[34:35]
	v_lshlrev_b64 v[34:35], 4, v[37:38]
	v_add_co_ci_u32_e64 v37, s0, v53, v19, s0
	v_lshlrev_b64 v[24:25], 4, v[24:25]
	v_add_co_u32 v38, s0, v52, v20
	v_mov_b32_e32 v29, v40
	v_add_co_ci_u32_e64 v39, s0, v53, v21, s0
	v_lshlrev_b64 v[26:27], 4, v[26:27]
	v_add_co_u32 v40, s0, v52, v22
	v_add_co_ci_u32_e64 v41, s0, v53, v23, s0
	v_mov_b32_e32 v31, v42
	v_lshlrev_b64 v[28:29], 4, v[28:29]
	v_add_co_u32 v42, s0, v52, v24
	v_add_co_ci_u32_e64 v43, s0, v53, v25, s0
	v_add_co_u32 v44, s0, v52, v26
	v_add_co_ci_u32_e64 v45, s0, v53, v27, s0
	v_lshlrev_b64 v[30:31], 4, v[30:31]
	v_add_co_u32 v46, s0, v52, v28
	v_add_co_ci_u32_e64 v47, s0, v53, v29, s0
	v_add_co_u32 v48, s0, v52, v32
	v_add_co_ci_u32_e64 v49, s0, v53, v33, s0
	;; [unrolled: 2-line block ×4, first 2 shown]
	s_clause 0xd
	global_load_dwordx4 v[0:3], v[0:1], off
	global_load_dwordx4 v[4:7], v[8:9], off
	;; [unrolled: 1-line block ×14, first 2 shown]
	v_mov_b32_e32 v100, v113
	s_waitcnt vmcnt(13)
	ds_write_b128 v102, v[0:3]
	s_waitcnt vmcnt(12)
	ds_write_b128 v102, v[4:7] offset:1008
	s_waitcnt vmcnt(11)
	ds_write_b128 v102, v[8:11] offset:2016
	;; [unrolled: 2-line block ×13, first 2 shown]
.LBB0_13:
	s_or_b32 exec_lo, exec_lo, s1
	s_waitcnt lgkmcnt(0)
	s_barrier
	buffer_gl0_inv
	ds_read_b128 v[36:39], v102 offset:12544
	ds_read_b128 v[40:43], v102 offset:1568
	ds_read_b128 v[44:47], v102 offset:6272
	ds_read_b128 v[48:51], v102 offset:7840
	ds_read_b128 v[52:55], v102 offset:3136
	ds_read_b128 v[56:59], v102 offset:10976
	ds_read_b128 v[24:27], v102 offset:2576
	ds_read_b128 v[20:23], v102 offset:4144
	ds_read_b128 v[28:31], v102 offset:11984
	ds_read_b128 v[32:35], v102 offset:13552
	ds_read_b128 v[60:63], v102 offset:4704
	ds_read_b128 v[12:15], v102 offset:5712
	ds_read_b128 v[8:11], v102 offset:7280
	ds_read_b128 v[0:3], v102 offset:8848
	ds_read_b128 v[64:67], v102
	s_mov_b32 s10, 0x523c161c
	s_mov_b32 s4, 0x8c811c17
	;; [unrolled: 1-line block ×3, first 2 shown]
	ds_read_b128 v[68:71], v102 offset:9408
	ds_read_b128 v[16:19], v102 offset:10416
	s_mov_b32 s11, 0x3fe491b7
	s_mov_b32 s5, 0x3fef838b
	s_waitcnt lgkmcnt(15)
	v_add_f64 v[72:73], v[40:41], v[36:37]
	v_add_f64 v[36:37], v[40:41], -v[36:37]
	v_add_f64 v[40:41], v[42:43], -v[38:39]
	s_waitcnt lgkmcnt(13)
	v_add_f64 v[74:75], v[44:45], v[48:49]
	v_add_f64 v[76:77], v[44:45], -v[48:49]
	v_add_f64 v[78:79], v[46:47], v[50:51]
	v_add_f64 v[80:81], v[46:47], -v[50:51]
	s_waitcnt lgkmcnt(11)
	v_add_f64 v[82:83], v[52:53], v[56:57]
	v_add_f64 v[84:85], v[54:55], v[58:59]
	;; [unrolled: 1-line block ×3, first 2 shown]
	s_mov_b32 s7, 0x3fe8836f
	s_mov_b32 s19, 0xbfe491b7
	;; [unrolled: 1-line block ×3, first 2 shown]
	v_add_f64 v[42:43], v[52:53], -v[56:57]
	v_add_f64 v[52:53], v[54:55], -v[58:59]
	s_mov_b32 s20, 0x7e0b738b
	s_waitcnt lgkmcnt(1)
	v_add_f64 v[124:125], v[60:61], v[68:69]
	v_add_f64 v[126:127], v[62:63], v[70:71]
	s_mov_b32 s21, 0x3fc63a1a
	v_add_f64 v[60:61], v[60:61], -v[68:69]
	v_add_f64 v[62:63], v[62:63], -v[70:71]
	s_mov_b32 s14, 0xe8584cab
	v_fma_f64 v[58:59], v[72:73], s[6:7], v[64:65]
	v_mul_f64 v[54:55], v[36:37], s[10:11]
	v_mul_f64 v[56:57], v[40:41], s[10:11]
	v_fma_f64 v[86:87], v[74:75], s[6:7], v[64:65]
	v_mul_f64 v[92:93], v[76:77], s[4:5]
	v_fma_f64 v[88:89], v[78:79], s[6:7], v[66:67]
	v_mul_f64 v[90:91], v[80:81], s[18:19]
	v_mul_f64 v[94:95], v[80:81], s[4:5]
	v_fma_f64 v[116:117], v[82:83], s[6:7], v[64:65]
	v_fma_f64 v[118:119], v[84:85], s[6:7], v[66:67]
	v_mul_f64 v[120:121], v[76:77], s[18:19]
	v_fma_f64 v[122:123], v[38:39], s[6:7], v[66:67]
	v_add_f64 v[128:129], v[82:83], v[72:73]
	v_add_f64 v[130:131], v[84:85], v[38:39]
	s_mov_b32 s15, 0x3febb67a
	s_mov_b32 s17, 0xbfebb67a
	;; [unrolled: 1-line block ×3, first 2 shown]
	v_add_f64 v[132:133], v[80:81], v[40:41]
	v_add_f64 v[134:135], v[76:77], v[36:37]
	s_mov_b32 s22, 0x748a0bf8
	s_mov_b32 s24, 0x42522d1b
	;; [unrolled: 1-line block ×3, first 2 shown]
	v_fma_f64 v[58:59], v[82:83], s[20:21], v[58:59]
	v_fma_f64 v[54:55], v[42:43], s[4:5], v[54:55]
	;; [unrolled: 1-line block ×4, first 2 shown]
	s_mov_b32 s25, 0xbfee11f6
	v_fma_f64 v[70:71], v[38:39], s[20:21], v[88:89]
	v_fma_f64 v[86:87], v[40:41], s[4:5], v[90:91]
	v_fma_f64 v[88:89], v[42:43], s[18:19], -v[92:93]
	v_fma_f64 v[90:91], v[52:53], s[18:19], -v[94:95]
	v_fma_f64 v[92:93], v[74:75], s[20:21], v[116:117]
	v_fma_f64 v[94:95], v[78:79], s[20:21], v[118:119]
	v_fma_f64 v[116:117], v[36:37], s[4:5], v[120:121]
	v_fma_f64 v[118:119], v[84:85], s[20:21], v[122:123]
	v_add_f64 v[136:137], v[124:125], v[128:129]
	v_add_f64 v[138:139], v[126:127], v[130:131]
	;; [unrolled: 1-line block ×6, first 2 shown]
	ds_read_b128 v[4:7], v102 offset:1008
	s_mov_b32 s1, exec_lo
	s_waitcnt lgkmcnt(0)
	v_fma_f64 v[58:59], v[124:125], -0.5, v[58:59]
	v_fma_f64 v[54:55], v[60:61], s[14:15], v[54:55]
	v_fma_f64 v[56:57], v[62:63], s[14:15], v[56:57]
	v_fma_f64 v[68:69], v[124:125], -0.5, v[68:69]
	s_barrier
	v_fma_f64 v[70:71], v[126:127], -0.5, v[70:71]
	v_fma_f64 v[86:87], v[62:63], s[16:17], v[86:87]
	v_fma_f64 v[88:89], v[60:61], s[14:15], v[88:89]
	;; [unrolled: 1-line block ×3, first 2 shown]
	v_fma_f64 v[90:91], v[124:125], -0.5, v[92:93]
	v_fma_f64 v[92:93], v[126:127], -0.5, v[94:95]
	v_fma_f64 v[60:61], v[60:61], s[16:17], v[116:117]
	v_fma_f64 v[94:95], v[126:127], -0.5, v[118:119]
	v_add_f64 v[44:45], v[44:45], v[136:137]
	v_add_f64 v[46:47], v[46:47], v[138:139]
	v_add_f64 v[116:117], v[132:133], -v[52:53]
	v_add_f64 v[118:119], v[134:135], -v[42:43]
	v_fma_f64 v[120:121], v[128:129], -0.5, v[120:121]
	v_fma_f64 v[122:123], v[130:131], -0.5, v[122:123]
	buffer_gl0_inv
	v_fma_f64 v[76:77], v[76:77], s[22:23], v[54:55]
	v_fma_f64 v[80:81], v[80:81], s[22:23], v[56:57]
	;; [unrolled: 1-line block ×12, first 2 shown]
	v_add_f64 v[82:83], v[48:49], v[44:45]
	v_add_f64 v[84:85], v[50:51], v[46:47]
	v_mul_f64 v[72:73], v[116:117], s[14:15]
	v_mul_f64 v[78:79], v[118:119], s[14:15]
	v_fma_f64 v[36:37], v[116:117], s[16:17], v[120:121]
	v_fma_f64 v[38:39], v[118:119], s[14:15], v[122:123]
	v_add_f64 v[40:41], v[54:55], -v[80:81]
	v_add_f64 v[44:45], v[56:57], -v[68:69]
	;; [unrolled: 1-line block ×3, first 2 shown]
	v_add_f64 v[50:51], v[74:75], v[62:63]
	v_add_f64 v[46:47], v[60:61], v[58:59]
	v_add_f64 v[42:43], v[76:77], v[42:43]
	v_add_f64 v[56:57], v[64:65], v[82:83]
	v_add_f64 v[58:59], v[66:67], v[84:85]
	v_fma_f64 v[52:53], v[72:73], 2.0, v[36:37]
	v_fma_f64 v[54:55], v[78:79], -2.0, v[38:39]
	v_fma_f64 v[62:63], v[80:81], 2.0, v[40:41]
	v_fma_f64 v[66:67], v[68:69], 2.0, v[44:45]
	;; [unrolled: 1-line block ×3, first 2 shown]
	v_fma_f64 v[72:73], v[74:75], -2.0, v[50:51]
	v_fma_f64 v[68:69], v[60:61], -2.0, v[46:47]
	v_fma_f64 v[64:65], v[76:77], -2.0, v[42:43]
	v_lshlrev_b32_e32 v60, 7, v96
	v_add_nc_u32_e32 v61, v102, v60
	ds_write_b128 v61, v[36:39] offset:48
	ds_write_b128 v61, v[56:59]
	ds_write_b128 v61, v[40:43] offset:16
	ds_write_b128 v61, v[44:47] offset:32
	;; [unrolled: 1-line block ×7, first 2 shown]
	v_cmpx_gt_u32_e32 35, v96
	s_cbranch_execz .LBB0_15
; %bb.14:
	v_add_f64 v[36:37], v[8:9], -v[0:1]
	v_add_f64 v[38:39], v[22:23], v[30:31]
	v_add_f64 v[40:41], v[10:11], -v[2:3]
	v_add_f64 v[42:43], v[20:21], v[28:29]
	v_add_f64 v[44:45], v[10:11], v[2:3]
	;; [unrolled: 1-line block ×3, first 2 shown]
	v_add_f64 v[48:49], v[24:25], -v[32:33]
	v_add_f64 v[50:51], v[26:27], v[34:35]
	v_add_f64 v[26:27], v[26:27], -v[34:35]
	v_add_f64 v[24:25], v[24:25], v[32:33]
	v_add_f64 v[20:21], v[20:21], -v[28:29]
	v_add_f64 v[22:23], v[22:23], -v[30:31]
	v_add_f64 v[70:71], v[14:15], v[18:19]
	v_add_f64 v[72:73], v[12:13], v[16:17]
	v_add_f64 v[12:13], v[12:13], -v[16:17]
	v_add_f64 v[14:15], v[14:15], -v[18:19]
	v_mul_f64 v[28:29], v[36:37], s[4:5]
	v_fma_f64 v[30:31], v[38:39], s[6:7], v[6:7]
	v_mul_f64 v[32:33], v[40:41], s[4:5]
	v_fma_f64 v[34:35], v[42:43], s[6:7], v[4:5]
	;; [unrolled: 2-line block ×6, first 2 shown]
	v_add_f64 v[74:75], v[38:39], v[50:51]
	v_add_f64 v[76:77], v[42:43], v[24:25]
	;; [unrolled: 1-line block ×4, first 2 shown]
	v_fma_f64 v[16:17], v[20:21], s[18:19], -v[28:29]
	v_fma_f64 v[18:19], v[44:45], s[20:21], v[30:31]
	v_fma_f64 v[28:29], v[22:23], s[18:19], -v[32:33]
	v_fma_f64 v[30:31], v[46:47], s[20:21], v[34:35]
	v_fma_f64 v[32:33], v[48:49], s[4:5], v[52:53]
	;; [unrolled: 1-line block ×9, first 2 shown]
	v_add_f64 v[82:83], v[70:71], v[74:75]
	v_add_f64 v[84:85], v[72:73], v[76:77]
	;; [unrolled: 1-line block ×6, first 2 shown]
	v_fma_f64 v[16:17], v[12:13], s[14:15], v[16:17]
	v_fma_f64 v[18:19], v[70:71], -0.5, v[18:19]
	v_fma_f64 v[28:29], v[14:15], s[14:15], v[28:29]
	v_fma_f64 v[30:31], v[72:73], -0.5, v[30:31]
	;; [unrolled: 2-line block ×6, first 2 shown]
	v_add_f64 v[10:11], v[10:11], v[82:83]
	v_add_f64 v[8:9], v[8:9], v[84:85]
	v_add_f64 v[62:63], v[66:67], -v[20:21]
	v_add_f64 v[64:65], v[78:79], -v[22:23]
	v_fma_f64 v[66:67], v[74:75], -0.5, v[68:69]
	v_fma_f64 v[68:69], v[76:77], -0.5, v[80:81]
	v_fma_f64 v[48:49], v[48:49], s[22:23], v[16:17]
	v_fma_f64 v[16:17], v[50:51], s[24:25], v[18:19]
	;; [unrolled: 1-line block ×12, first 2 shown]
	v_add_f64 v[42:43], v[2:3], v[10:11]
	v_add_f64 v[44:45], v[0:1], v[8:9]
	v_mul_f64 v[38:39], v[62:63], s[14:15]
	v_mul_f64 v[40:41], v[64:65], s[14:15]
	v_fma_f64 v[2:3], v[62:63], s[14:15], v[66:67]
	v_fma_f64 v[0:1], v[64:65], s[16:17], v[68:69]
	v_add_f64 v[10:11], v[48:49], v[16:17]
	v_add_f64 v[8:9], v[18:19], -v[28:29]
	v_add_f64 v[14:15], v[30:31], v[20:21]
	v_add_f64 v[12:13], v[22:23], -v[32:33]
	;; [unrolled: 2-line block ×3, first 2 shown]
	v_add_f64 v[6:7], v[6:7], v[42:43]
	v_add_f64 v[4:5], v[4:5], v[44:45]
	v_fma_f64 v[22:23], v[38:39], -2.0, v[2:3]
	v_fma_f64 v[20:21], v[40:41], 2.0, v[0:1]
	v_fma_f64 v[26:27], v[48:49], -2.0, v[10:11]
	v_fma_f64 v[24:25], v[28:29], 2.0, v[8:9]
	;; [unrolled: 2-line block ×4, first 2 shown]
	v_mad_i32_i24 v36, 0x90, v100, 0
	ds_write_b128 v36, v[0:3] offset:48
	ds_write_b128 v36, v[4:7]
	ds_write_b128 v36, v[16:19] offset:16
	ds_write_b128 v36, v[12:15] offset:32
	;; [unrolled: 1-line block ×7, first 2 shown]
.LBB0_15:
	s_or_b32 exec_lo, exec_lo, s1
	v_and_b32_e32 v0, 0xff, v96
	v_mov_b32_e32 v1, 6
	s_waitcnt lgkmcnt(0)
	s_barrier
	buffer_gl0_inv
	v_mul_lo_u16 v0, v0, 57
	v_sub_nc_u32_e32 v116, v61, v60
	v_lshl_add_u32 v117, v100, 4, 0
	s_mov_b32 s14, 0x37e14327
	s_mov_b32 s4, 0x36b3c0b5
	v_lshrrev_b16 v97, 9, v0
	s_mov_b32 s10, 0xe976ee23
	s_mov_b32 s6, 0x429ad128
	;; [unrolled: 1-line block ×4, first 2 shown]
	v_mul_lo_u16 v0, v97, 9
	s_mov_b32 s11, 0x3fe11646
	s_mov_b32 s7, 0xbfebfeb5
	;; [unrolled: 1-line block ×4, first 2 shown]
	v_sub_nc_u16 v101, v96, v0
	v_and_b32_e32 v0, 0xff, v100
	s_mov_b32 s24, 0xb247c609
	s_mov_b32 s17, 0xbff2aaaa
	;; [unrolled: 1-line block ×3, first 2 shown]
	v_mul_u32_u24_sdwa v2, v101, v1 dst_sel:DWORD dst_unused:UNUSED_PAD src0_sel:BYTE_0 src1_sel:DWORD
	v_mul_lo_u16 v0, v0, 57
	s_mov_b32 s19, 0xbfe77f67
	s_mov_b32 s25, 0xbfd5d0dc
	;; [unrolled: 1-line block ×3, first 2 shown]
	v_lshlrev_b32_e32 v2, 4, v2
	v_lshrrev_b16 v118, 9, v0
	s_mov_b32 s18, s22
	s_mov_b32 s20, s24
	;; [unrolled: 1-line block ×3, first 2 shown]
	s_clause 0x1
	global_load_dwordx4 v[40:43], v2, s[8:9]
	global_load_dwordx4 v[36:39], v2, s[8:9] offset:16
	v_mul_lo_u16 v0, v118, 9
	s_clause 0x2
	global_load_dwordx4 v[32:35], v2, s[8:9] offset:32
	global_load_dwordx4 v[20:23], v2, s[8:9] offset:48
	;; [unrolled: 1-line block ×3, first 2 shown]
	s_mov_b32 s27, 0xbfdc38aa
	v_sub_nc_u16 v119, v100, v0
	v_mul_u32_u24_sdwa v0, v119, v1 dst_sel:DWORD dst_unused:UNUSED_PAD src0_sel:BYTE_0 src1_sel:DWORD
	v_lshlrev_b32_e32 v0, 4, v0
	s_clause 0x6
	global_load_dwordx4 v[28:31], v2, s[8:9] offset:80
	global_load_dwordx4 v[44:47], v0, s[8:9]
	global_load_dwordx4 v[52:55], v0, s[8:9] offset:80
	global_load_dwordx4 v[48:51], v0, s[8:9] offset:16
	;; [unrolled: 1-line block ×5, first 2 shown]
	ds_read_b128 v[64:67], v116 offset:2016
	ds_read_b128 v[60:63], v102 offset:12096
	;; [unrolled: 1-line block ×11, first 2 shown]
	ds_read_b128 v[16:19], v102
	ds_read_b128 v[120:123], v116 offset:6048
	ds_read_b128 v[124:127], v117
	s_waitcnt vmcnt(0) lgkmcnt(0)
	s_barrier
	buffer_gl0_inv
	v_mul_f64 v[128:129], v[66:67], v[42:43]
	v_mul_f64 v[42:43], v[64:65], v[42:43]
	v_mul_f64 v[130:131], v[94:95], v[38:39]
	v_mul_f64 v[38:39], v[92:93], v[38:39]
	v_mul_f64 v[132:133], v[122:123], v[34:35]
	v_mul_f64 v[34:35], v[120:121], v[34:35]
	v_mul_f64 v[136:137], v[78:79], v[26:27]
	v_mul_f64 v[26:27], v[76:77], v[26:27]
	v_mul_f64 v[134:135], v[86:87], v[22:23]
	v_mul_f64 v[22:23], v[84:85], v[22:23]
	v_mul_f64 v[138:139], v[62:63], v[30:31]
	v_mul_f64 v[30:31], v[60:61], v[30:31]
	v_fma_f64 v[64:65], v[64:65], v[40:41], v[128:129]
	v_fma_f64 v[40:41], v[66:67], v[40:41], -v[42:43]
	v_mul_f64 v[42:43], v[90:91], v[46:47]
	v_mul_f64 v[46:47], v[88:89], v[46:47]
	v_mul_f64 v[66:67], v[70:71], v[54:55]
	v_mul_f64 v[54:55], v[68:69], v[54:55]
	v_fma_f64 v[92:93], v[92:93], v[36:37], v[130:131]
	v_fma_f64 v[36:37], v[94:95], v[36:37], -v[38:39]
	v_mul_f64 v[38:39], v[82:83], v[50:51]
	v_mul_f64 v[50:51], v[80:81], v[50:51]
	v_mul_f64 v[94:95], v[74:75], v[58:59]
	v_mul_f64 v[58:59], v[72:73], v[58:59]
	v_fma_f64 v[120:121], v[120:121], v[32:33], v[132:133]
	v_fma_f64 v[32:33], v[122:123], v[32:33], -v[34:35]
	v_mul_f64 v[34:35], v[14:15], v[6:7]
	v_mul_f64 v[6:7], v[12:13], v[6:7]
	v_mul_f64 v[122:123], v[10:11], v[2:3]
	v_mul_f64 v[2:3], v[8:9], v[2:3]
	v_fma_f64 v[60:61], v[60:61], v[28:29], v[138:139]
	v_fma_f64 v[28:29], v[62:63], v[28:29], -v[30:31]
	v_fma_f64 v[30:31], v[76:77], v[24:25], v[136:137]
	v_fma_f64 v[24:25], v[78:79], v[24:25], -v[26:27]
	;; [unrolled: 2-line block ×5, first 2 shown]
	v_mov_b32_e32 v88, 0x3f0
	v_mov_b32_e32 v89, 4
	v_fma_f64 v[38:39], v[80:81], v[48:49], v[38:39]
	v_fma_f64 v[46:47], v[82:83], v[48:49], -v[50:51]
	v_fma_f64 v[48:49], v[72:73], v[56:57], v[94:95]
	v_fma_f64 v[50:51], v[74:75], v[56:57], -v[58:59]
	v_mul_u32_u24_e32 v90, 6, v96
	v_fma_f64 v[12:13], v[12:13], v[4:5], v[34:35]
	v_fma_f64 v[4:5], v[14:15], v[4:5], -v[6:7]
	v_fma_f64 v[6:7], v[8:9], v[0:1], v[122:123]
	v_fma_f64 v[0:1], v[10:11], v[0:1], -v[2:3]
	v_add_f64 v[2:3], v[64:65], v[60:61]
	v_add_f64 v[8:9], v[40:41], v[28:29]
	;; [unrolled: 1-line block ×6, first 2 shown]
	v_add_f64 v[30:31], v[92:93], -v[30:31]
	v_add_f64 v[24:25], v[36:37], -v[24:25]
	v_add_f64 v[54:55], v[22:23], v[42:43]
	v_add_f64 v[56:57], v[26:27], v[44:45]
	v_add_f64 v[36:37], v[84:85], -v[120:121]
	v_add_f64 v[20:21], v[20:21], -v[32:33]
	v_add_f64 v[32:33], v[64:65], -v[60:61]
	v_add_f64 v[22:23], v[22:23], -v[42:43]
	v_add_f64 v[58:59], v[38:39], v[48:49]
	v_add_f64 v[62:63], v[46:47], v[50:51]
	v_add_f64 v[26:27], v[26:27], -v[44:45]
	v_add_f64 v[28:29], v[40:41], -v[28:29]
	;; [unrolled: 6-line block ×3, first 2 shown]
	v_add_f64 v[4:5], v[10:11], v[2:3]
	v_add_f64 v[12:13], v[14:15], v[8:9]
	v_add_f64 v[46:47], v[10:11], -v[2:3]
	v_add_f64 v[48:49], v[14:15], -v[8:9]
	;; [unrolled: 1-line block ×6, first 2 shown]
	v_add_f64 v[50:51], v[36:37], v[30:31]
	v_add_f64 v[66:67], v[20:21], v[24:25]
	v_add_f64 v[68:69], v[36:37], -v[30:31]
	v_add_f64 v[70:71], v[20:21], -v[24:25]
	v_add_f64 v[60:61], v[58:59], v[54:55]
	v_add_f64 v[64:65], v[62:63], v[56:57]
	v_add_f64 v[30:31], v[30:31], -v[32:33]
	v_add_f64 v[24:25], v[24:25], -v[28:29]
	;; [unrolled: 1-line block ×8, first 2 shown]
	v_add_f64 v[34:35], v[34:35], v[4:5]
	v_add_f64 v[12:13], v[52:53], v[12:13]
	;; [unrolled: 1-line block ×4, first 2 shown]
	v_add_f64 v[80:81], v[6:7], -v[38:39]
	v_add_f64 v[82:83], v[0:1], -v[40:41]
	;; [unrolled: 1-line block ×7, first 2 shown]
	v_add_f64 v[32:33], v[50:51], v[32:33]
	v_add_f64 v[42:43], v[42:43], v[60:61]
	;; [unrolled: 1-line block ×3, first 2 shown]
	v_mul_f64 v[50:51], v[2:3], s[14:15]
	v_mul_f64 v[60:61], v[10:11], s[4:5]
	v_add_f64 v[28:29], v[66:67], v[28:29]
	v_mul_f64 v[8:9], v[8:9], s[14:15]
	v_mul_f64 v[64:65], v[14:15], s[4:5]
	;; [unrolled: 1-line block ×5, first 2 shown]
	v_add_f64 v[0:1], v[16:17], v[34:35]
	v_add_f64 v[2:3], v[18:19], v[12:13]
	v_mul_f64 v[86:87], v[24:25], s[6:7]
	v_add_f64 v[52:53], v[22:23], -v[6:7]
	v_add_f64 v[22:23], v[76:77], v[22:23]
	v_add_f64 v[26:27], v[78:79], v[26:27]
	v_mul_f64 v[54:55], v[54:55], s[14:15]
	v_mul_f64 v[56:57], v[56:57], s[14:15]
	v_mul_f64 v[76:77], v[80:81], s[10:11]
	v_mul_f64 v[78:79], v[82:83], s[10:11]
	v_mul_f64 v[80:81], v[38:39], s[6:7]
	v_mul_f64 v[82:83], v[40:41], s[6:7]
	v_add_f64 v[4:5], v[124:125], v[42:43]
	v_add_f64 v[6:7], v[126:127], v[44:45]
	v_mul_f64 v[16:17], v[58:59], s[4:5]
	v_mul_f64 v[18:19], v[62:63], s[4:5]
	v_fma_f64 v[10:11], v[10:11], s[4:5], v[50:51]
	v_fma_f64 v[60:61], v[46:47], s[22:23], -v[60:61]
	v_fma_f64 v[46:47], v[46:47], s[18:19], -v[50:51]
	v_fma_f64 v[14:15], v[14:15], s[4:5], v[8:9]
	v_fma_f64 v[50:51], v[48:49], s[22:23], -v[64:65]
	v_fma_f64 v[8:9], v[48:49], s[18:19], -v[8:9]
	v_fma_f64 v[48:49], v[36:37], s[24:25], v[66:67]
	v_fma_f64 v[64:65], v[20:21], s[24:25], v[68:69]
	v_fma_f64 v[30:31], v[30:31], s[6:7], -v[66:67]
	v_fma_f64 v[36:37], v[36:37], s[20:21], -v[70:71]
	v_fma_f64 v[34:35], v[34:35], s[16:17], v[0:1]
	;; [unrolled: 4-line block ×3, first 2 shown]
	v_fma_f64 v[62:63], v[62:63], s[4:5], v[56:57]
	v_fma_f64 v[66:67], v[52:53], s[24:25], v[76:77]
	;; [unrolled: 1-line block ×5, first 2 shown]
	v_fma_f64 v[52:53], v[52:53], s[20:21], -v[80:81]
	v_fma_f64 v[70:71], v[84:85], s[20:21], -v[82:83]
	;; [unrolled: 1-line block ×8, first 2 shown]
	v_fma_f64 v[48:49], v[32:33], s[26:27], v[48:49]
	v_fma_f64 v[64:65], v[28:29], s[26:27], v[64:65]
	;; [unrolled: 1-line block ×4, first 2 shown]
	v_add_f64 v[36:37], v[10:11], v[34:35]
	v_add_f64 v[72:73], v[14:15], v[12:13]
	v_fma_f64 v[24:25], v[28:29], s[26:27], v[24:25]
	v_fma_f64 v[28:29], v[28:29], s[26:27], v[20:21]
	v_add_f64 v[46:47], v[46:47], v[34:35]
	v_add_f64 v[74:75], v[8:9], v[12:13]
	v_add_f64 v[20:21], v[60:61], v[34:35]
	v_add_f64 v[34:35], v[50:51], v[12:13]
	v_fma_f64 v[60:61], v[22:23], s[26:27], v[66:67]
	v_fma_f64 v[66:67], v[26:27], s[26:27], v[68:69]
	v_add_f64 v[58:59], v[58:59], v[42:43]
	v_add_f64 v[62:63], v[62:63], v[44:45]
	v_fma_f64 v[52:53], v[22:23], s[26:27], v[52:53]
	v_fma_f64 v[70:71], v[26:27], s[26:27], v[70:71]
	v_add_f64 v[54:55], v[54:55], v[42:43]
	v_add_f64 v[56:57], v[56:57], v[44:45]
	;; [unrolled: 4-line block ×3, first 2 shown]
	v_mul_u32_u24_sdwa v80, v97, v88 dst_sel:DWORD dst_unused:UNUSED_PAD src0_sel:WORD_0 src1_sel:DWORD
	v_lshlrev_b32_sdwa v82, v89, v101 dst_sel:DWORD dst_unused:UNUSED_PAD src0_sel:DWORD src1_sel:BYTE_0
	v_add_f64 v[8:9], v[64:65], v[36:37]
	v_add_f64 v[10:11], v[72:73], -v[48:49]
	v_mul_u32_u24_sdwa v81, v118, v88 dst_sel:DWORD dst_unused:UNUSED_PAD src0_sel:WORD_0 src1_sel:DWORD
	v_lshlrev_b32_sdwa v83, v89, v119 dst_sel:DWORD dst_unused:UNUSED_PAD src0_sel:DWORD src1_sel:BYTE_0
	v_add_f64 v[12:13], v[28:29], v[46:47]
	v_add_f64 v[14:15], v[74:75], -v[32:33]
	v_add_f64 v[16:17], v[20:21], -v[24:25]
	v_add_f64 v[18:19], v[30:31], v[34:35]
	v_add_f64 v[20:21], v[24:25], v[20:21]
	v_add_f64 v[22:23], v[34:35], -v[30:31]
	v_add_f64 v[24:25], v[46:47], -v[28:29]
	v_add_f64 v[26:27], v[32:33], v[74:75]
	v_add_f64 v[28:29], v[36:37], -v[64:65]
	v_add_f64 v[30:31], v[48:49], v[72:73]
	v_add_f64 v[32:33], v[66:67], v[58:59]
	v_add_f64 v[34:35], v[62:63], -v[60:61]
	v_add_f64 v[36:37], v[70:71], v[54:55]
	v_add_f64 v[38:39], v[56:57], -v[52:53]
	v_add_f64 v[40:41], v[76:77], -v[68:69]
	v_add_f64 v[42:43], v[50:51], v[78:79]
	v_add_f64 v[44:45], v[68:69], v[76:77]
	v_add_f64 v[46:47], v[78:79], -v[50:51]
	v_add_f64 v[48:49], v[54:55], -v[70:71]
	v_add_f64 v[50:51], v[52:53], v[56:57]
	v_add_f64 v[52:53], v[58:59], -v[66:67]
	v_add_f64 v[54:55], v[60:61], v[62:63]
	v_lshlrev_b32_e32 v56, 4, v90
	v_add3_u32 v57, 0, v80, v82
	v_add3_u32 v58, 0, v81, v83
	ds_write_b128 v57, v[0:3]
	ds_write_b128 v57, v[8:11] offset:144
	ds_write_b128 v57, v[12:15] offset:288
	;; [unrolled: 1-line block ×6, first 2 shown]
	ds_write_b128 v58, v[4:7]
	ds_write_b128 v58, v[32:35] offset:144
	ds_write_b128 v58, v[36:39] offset:288
	;; [unrolled: 1-line block ×6, first 2 shown]
	s_waitcnt lgkmcnt(0)
	s_barrier
	buffer_gl0_inv
	s_clause 0x5
	global_load_dwordx4 v[12:15], v56, s[8:9] offset:864
	global_load_dwordx4 v[8:11], v56, s[8:9] offset:880
	global_load_dwordx4 v[0:3], v56, s[8:9] offset:896
	global_load_dwordx4 v[20:23], v56, s[8:9] offset:944
	global_load_dwordx4 v[16:19], v56, s[8:9] offset:928
	global_load_dwordx4 v[4:7], v56, s[8:9] offset:912
	ds_read_b128 v[26:29], v116 offset:2016
	ds_read_b128 v[30:33], v102 offset:3024
	ds_read_b128 v[34:37], v116 offset:4032
	ds_read_b128 v[38:41], v116 offset:6048
	ds_read_b128 v[42:45], v102 offset:10080
	ds_read_b128 v[46:49], v102 offset:12096
	ds_read_b128 v[50:53], v102 offset:8064
	ds_read_b128 v[54:57], v102 offset:5040
	ds_read_b128 v[58:61], v102 offset:13104
	ds_read_b128 v[62:65], v102 offset:11088
	ds_read_b128 v[66:69], v102 offset:7056
	ds_read_b128 v[70:73], v102 offset:9072
	ds_read_b128 v[74:77], v117
	ds_read_b128 v[78:81], v102
	v_mov_b32_e32 v97, 0
	s_waitcnt vmcnt(0) lgkmcnt(0)
	s_barrier
	buffer_gl0_inv
	v_mov_b32_e32 v101, v97
	v_lshlrev_b64 v[24:25], 4, v[96:97]
	v_lshlrev_b64 v[82:83], 4, v[100:101]
	v_add_co_u32 v24, s0, s8, v24
	v_add_co_ci_u32_e64 v25, s0, s9, v25, s0
	v_mul_f64 v[84:85], v[28:29], v[14:15]
	v_mul_f64 v[86:87], v[26:27], v[14:15]
	;; [unrolled: 1-line block ×24, first 2 shown]
	v_fma_f64 v[26:27], v[26:27], v[12:13], v[84:85]
	v_fma_f64 v[28:29], v[28:29], v[12:13], -v[86:87]
	v_fma_f64 v[30:31], v[30:31], v[12:13], v[88:89]
	v_fma_f64 v[12:13], v[32:33], v[12:13], -v[14:15]
	v_fma_f64 v[14:15], v[34:35], v[8:9], v[90:91]
	v_fma_f64 v[32:33], v[36:37], v[8:9], -v[92:93]
	v_fma_f64 v[34:35], v[46:47], v[20:21], v[118:119]
	v_fma_f64 v[36:37], v[48:49], v[20:21], -v[120:121]
	v_fma_f64 v[42:43], v[42:43], v[16:17], v[122:123]
	v_fma_f64 v[44:45], v[44:45], v[16:17], -v[124:125]
	v_fma_f64 v[38:39], v[38:39], v[0:1], v[94:95]
	v_fma_f64 v[40:41], v[40:41], v[0:1], -v[100:101]
	v_fma_f64 v[46:47], v[50:51], v[4:5], v[126:127]
	v_fma_f64 v[48:49], v[52:53], v[4:5], -v[128:129]
	v_fma_f64 v[50:51], v[58:59], v[20:21], v[132:133]
	v_fma_f64 v[20:21], v[60:61], v[20:21], -v[22:23]
	v_fma_f64 v[22:23], v[54:55], v[8:9], v[130:131]
	v_fma_f64 v[8:9], v[56:57], v[8:9], -v[10:11]
	v_fma_f64 v[10:11], v[62:63], v[16:17], v[134:135]
	v_fma_f64 v[16:17], v[64:65], v[16:17], -v[18:19]
	v_fma_f64 v[18:19], v[66:67], v[0:1], v[136:137]
	v_fma_f64 v[0:1], v[68:69], v[0:1], -v[2:3]
	v_fma_f64 v[2:3], v[70:71], v[4:5], v[138:139]
	v_fma_f64 v[4:5], v[72:73], v[4:5], -v[6:7]
	v_add_co_u32 v94, s0, s8, v82
	v_add_co_ci_u32_e64 v95, s0, s9, v83, s0
	v_add_f64 v[6:7], v[26:27], v[34:35]
	v_add_f64 v[52:53], v[28:29], v[36:37]
	;; [unrolled: 1-line block ×4, first 2 shown]
	v_add_f64 v[26:27], v[26:27], -v[34:35]
	v_add_f64 v[28:29], v[28:29], -v[36:37]
	v_add_f64 v[34:35], v[38:39], v[46:47]
	v_add_f64 v[36:37], v[40:41], v[48:49]
	v_add_f64 v[14:15], v[14:15], -v[42:43]
	v_add_f64 v[32:33], v[32:33], -v[44:45]
	v_add_f64 v[38:39], v[46:47], -v[38:39]
	v_add_f64 v[40:41], v[48:49], -v[40:41]
	v_add_f64 v[42:43], v[30:31], v[50:51]
	v_add_f64 v[44:45], v[12:13], v[20:21]
	;; [unrolled: 1-line block ×4, first 2 shown]
	v_add_f64 v[12:13], v[12:13], -v[20:21]
	v_add_f64 v[8:9], v[8:9], -v[16:17]
	v_add_f64 v[16:17], v[18:19], v[2:3]
	v_add_f64 v[20:21], v[0:1], v[4:5]
	v_add_f64 v[2:3], v[2:3], -v[18:19]
	v_add_f64 v[0:1], v[4:5], -v[0:1]
	;; [unrolled: 1-line block ×4, first 2 shown]
	v_add_f64 v[4:5], v[54:55], v[6:7]
	v_add_f64 v[18:19], v[56:57], v[52:53]
	v_add_f64 v[22:23], v[54:55], -v[6:7]
	v_add_f64 v[50:51], v[56:57], -v[52:53]
	;; [unrolled: 1-line block ×6, first 2 shown]
	v_add_f64 v[58:59], v[38:39], v[14:15]
	v_add_f64 v[60:61], v[40:41], v[32:33]
	v_add_f64 v[62:63], v[38:39], -v[14:15]
	v_add_f64 v[64:65], v[40:41], -v[32:33]
	v_add_f64 v[66:67], v[46:47], v[42:43]
	v_add_f64 v[68:69], v[48:49], v[44:45]
	v_add_f64 v[14:15], v[14:15], -v[26:27]
	v_add_f64 v[32:33], v[32:33], -v[28:29]
	;; [unrolled: 1-line block ×8, first 2 shown]
	v_add_f64 v[34:35], v[34:35], v[4:5]
	v_add_f64 v[18:19], v[36:37], v[18:19]
	;; [unrolled: 1-line block ×4, first 2 shown]
	v_add_f64 v[86:87], v[2:3], -v[10:11]
	v_add_f64 v[88:89], v[0:1], -v[8:9]
	;; [unrolled: 1-line block ×8, first 2 shown]
	v_add_f64 v[16:17], v[16:17], v[66:67]
	v_add_f64 v[20:21], v[20:21], v[68:69]
	;; [unrolled: 1-line block ×4, first 2 shown]
	v_mul_f64 v[58:59], v[6:7], s[14:15]
	v_mul_f64 v[52:53], v[52:53], s[14:15]
	;; [unrolled: 1-line block ×8, first 2 shown]
	v_add_f64 v[0:1], v[78:79], v[34:35]
	v_add_f64 v[2:3], v[80:81], v[18:19]
	;; [unrolled: 1-line block ×4, first 2 shown]
	v_mul_f64 v[42:43], v[42:43], s[14:15]
	v_mul_f64 v[44:45], v[44:45], s[14:15]
	;; [unrolled: 1-line block ×6, first 2 shown]
	v_add_f64 v[4:5], v[74:75], v[16:17]
	v_add_f64 v[6:7], v[76:77], v[20:21]
	v_mul_f64 v[78:79], v[46:47], s[4:5]
	v_mul_f64 v[80:81], v[48:49], s[4:5]
	v_fma_f64 v[54:55], v[54:55], s[4:5], v[58:59]
	v_fma_f64 v[56:57], v[56:57], s[4:5], v[52:53]
	v_fma_f64 v[60:61], v[22:23], s[22:23], -v[60:61]
	v_fma_f64 v[66:67], v[50:51], s[22:23], -v[66:67]
	;; [unrolled: 1-line block ×4, first 2 shown]
	v_fma_f64 v[52:53], v[38:39], s[24:25], v[62:63]
	v_fma_f64 v[58:59], v[40:41], s[24:25], v[64:65]
	v_fma_f64 v[14:15], v[14:15], s[6:7], -v[62:63]
	v_fma_f64 v[38:39], v[38:39], s[20:21], -v[68:69]
	;; [unrolled: 1-line block ×3, first 2 shown]
	v_fma_f64 v[34:35], v[34:35], s[16:17], v[0:1]
	v_fma_f64 v[18:19], v[18:19], s[16:17], v[2:3]
	v_fma_f64 v[32:33], v[32:33], s[6:7], -v[64:65]
	v_fma_f64 v[46:47], v[46:47], s[4:5], v[42:43]
	v_fma_f64 v[48:49], v[48:49], s[4:5], v[44:45]
	;; [unrolled: 1-line block ×4, first 2 shown]
	v_fma_f64 v[76:77], v[90:91], s[20:21], -v[88:89]
	v_fma_f64 v[16:17], v[16:17], s[16:17], v[4:5]
	v_fma_f64 v[20:21], v[20:21], s[16:17], v[6:7]
	v_fma_f64 v[36:37], v[36:37], s[20:21], -v[86:87]
	v_fma_f64 v[42:43], v[70:71], s[18:19], -v[42:43]
	v_fma_f64 v[44:45], v[72:73], s[18:19], -v[44:45]
	v_fma_f64 v[62:63], v[70:71], s[22:23], -v[78:79]
	v_fma_f64 v[64:65], v[72:73], s[22:23], -v[80:81]
	v_fma_f64 v[10:11], v[10:11], s[6:7], -v[82:83]
	v_fma_f64 v[8:9], v[8:9], s[6:7], -v[84:85]
	v_fma_f64 v[52:53], v[26:27], s[26:27], v[52:53]
	v_fma_f64 v[58:59], v[28:29], s[26:27], v[58:59]
	;; [unrolled: 1-line block ×5, first 2 shown]
	v_add_f64 v[40:41], v[54:55], v[34:35]
	v_add_f64 v[54:55], v[56:57], v[18:19]
	v_fma_f64 v[32:33], v[28:29], s[26:27], v[32:33]
	v_add_f64 v[28:29], v[22:23], v[34:35]
	v_add_f64 v[50:51], v[50:51], v[18:19]
	v_add_f64 v[22:23], v[60:61], v[34:35]
	v_add_f64 v[34:35], v[66:67], v[18:19]
	v_fma_f64 v[56:57], v[30:31], s[26:27], v[68:69]
	v_fma_f64 v[60:61], v[12:13], s[26:27], v[74:75]
	;; [unrolled: 1-line block ×3, first 2 shown]
	v_add_f64 v[76:77], v[46:47], v[16:17]
	v_add_f64 v[78:79], v[48:49], v[20:21]
	v_fma_f64 v[72:73], v[30:31], s[26:27], v[36:37]
	v_add_f64 v[80:81], v[42:43], v[16:17]
	v_add_f64 v[82:83], v[44:45], v[20:21]
	v_fma_f64 v[66:67], v[30:31], s[26:27], v[10:11]
	v_fma_f64 v[68:69], v[12:13], s[26:27], v[8:9]
	v_add_f64 v[46:47], v[62:63], v[16:17]
	v_add_f64 v[48:49], v[64:65], v[20:21]
	v_add_co_u32 v62, s0, 0x1800, v24
	v_add_co_ci_u32_e64 v63, s0, 0, v25, s0
	v_add_f64 v[8:9], v[58:59], v[40:41]
	v_add_f64 v[10:11], v[54:55], -v[52:53]
	v_add_f64 v[12:13], v[26:27], v[28:29]
	v_add_f64 v[14:15], v[50:51], -v[38:39]
	v_add_f64 v[16:17], v[22:23], -v[32:33]
	v_add_f64 v[18:19], v[70:71], v[34:35]
	v_add_f64 v[20:21], v[32:33], v[22:23]
	v_add_f64 v[22:23], v[34:35], -v[70:71]
	v_add_f64 v[26:27], v[28:29], -v[26:27]
	v_add_f64 v[28:29], v[38:39], v[50:51]
	v_add_f64 v[30:31], v[40:41], -v[58:59]
	v_add_f64 v[32:33], v[52:53], v[54:55]
	v_add_f64 v[34:35], v[60:61], v[76:77]
	v_add_f64 v[36:37], v[78:79], -v[56:57]
	v_add_f64 v[38:39], v[74:75], v[80:81]
	v_add_f64 v[40:41], v[82:83], -v[72:73]
	v_add_f64 v[42:43], v[46:47], -v[68:69]
	v_add_f64 v[44:45], v[66:67], v[48:49]
	v_add_f64 v[46:47], v[68:69], v[46:47]
	v_add_f64 v[48:49], v[48:49], -v[66:67]
	v_add_f64 v[50:51], v[80:81], -v[74:75]
	v_add_f64 v[52:53], v[72:73], v[82:83]
	v_add_f64 v[54:55], v[76:77], -v[60:61]
	v_add_f64 v[56:57], v[56:57], v[78:79]
	v_add_co_u32 v58, s0, 0x2000, v24
	v_add_co_ci_u32_e64 v59, s0, 0, v25, s0
	v_add_co_u32 v60, s0, 0x1800, v94
	v_add_co_ci_u32_e64 v61, s0, 0, v95, s0
	ds_write_b128 v102, v[0:3]
	ds_write_b128 v102, v[4:7] offset:7056
	ds_write_b128 v102, v[8:11] offset:1008
	;; [unrolled: 1-line block ×13, first 2 shown]
	s_waitcnt lgkmcnt(0)
	s_barrier
	buffer_gl0_inv
	global_load_dwordx4 v[0:3], v[62:63], off offset:768
	v_add_co_u32 v20, s0, 0x2800, v24
	v_add_co_ci_u32_e64 v21, s0, 0, v25, s0
	s_clause 0x2
	global_load_dwordx4 v[4:7], v[60:61], off offset:768
	global_load_dwordx4 v[8:11], v[58:59], off offset:736
	global_load_dwordx4 v[12:15], v[58:59], off offset:1744
	v_add_co_u32 v24, s0, 0x3000, v24
	v_add_co_ci_u32_e64 v25, s0, 0, v25, s0
	s_clause 0x2
	global_load_dwordx4 v[16:19], v[20:21], off offset:704
	global_load_dwordx4 v[20:23], v[20:21], off offset:1712
	;; [unrolled: 1-line block ×3, first 2 shown]
	ds_read_b128 v[28:31], v102 offset:7056
	ds_read_b128 v[32:35], v102 offset:8064
	;; [unrolled: 1-line block ×8, first 2 shown]
	ds_read_b128 v[60:63], v102
	ds_read_b128 v[64:67], v102 offset:3024
	ds_read_b128 v[68:71], v116 offset:2016
	;; [unrolled: 1-line block ×3, first 2 shown]
	s_waitcnt vmcnt(6) lgkmcnt(11)
	v_mul_f64 v[76:77], v[30:31], v[2:3]
	v_mul_f64 v[2:3], v[28:29], v[2:3]
	s_waitcnt vmcnt(5) lgkmcnt(10)
	v_mul_f64 v[78:79], v[34:35], v[6:7]
	v_mul_f64 v[6:7], v[32:33], v[6:7]
	;; [unrolled: 3-line block ×7, first 2 shown]
	v_fma_f64 v[28:29], v[28:29], v[0:1], v[76:77]
	v_fma_f64 v[30:31], v[30:31], v[0:1], -v[2:3]
	ds_read_b128 v[0:3], v117
	v_fma_f64 v[32:33], v[32:33], v[4:5], v[78:79]
	v_fma_f64 v[34:35], v[34:35], v[4:5], -v[6:7]
	ds_read_b128 v[4:7], v116 offset:6048
	v_fma_f64 v[36:37], v[36:37], v[8:9], v[80:81]
	v_fma_f64 v[38:39], v[38:39], v[8:9], -v[10:11]
	v_fma_f64 v[40:41], v[40:41], v[12:13], v[82:83]
	v_fma_f64 v[42:43], v[42:43], v[12:13], -v[14:15]
	;; [unrolled: 2-line block ×5, first 2 shown]
	s_waitcnt lgkmcnt(0)
	s_barrier
	buffer_gl0_inv
	v_add_f64 v[8:9], v[60:61], -v[28:29]
	v_add_f64 v[10:11], v[62:63], -v[30:31]
	;; [unrolled: 1-line block ×14, first 2 shown]
	v_fma_f64 v[36:37], v[60:61], 2.0, -v[8:9]
	v_fma_f64 v[38:39], v[62:63], 2.0, -v[10:11]
	v_fma_f64 v[0:1], v[0:1], 2.0, -v[12:13]
	v_fma_f64 v[2:3], v[2:3], 2.0, -v[14:15]
	v_fma_f64 v[40:41], v[68:69], 2.0, -v[16:17]
	v_fma_f64 v[42:43], v[70:71], 2.0, -v[18:19]
	v_fma_f64 v[44:45], v[64:65], 2.0, -v[20:21]
	v_fma_f64 v[46:47], v[66:67], 2.0, -v[22:23]
	v_fma_f64 v[48:49], v[72:73], 2.0, -v[24:25]
	v_fma_f64 v[50:51], v[74:75], 2.0, -v[26:27]
	v_fma_f64 v[52:53], v[56:57], 2.0, -v[28:29]
	v_fma_f64 v[54:55], v[58:59], 2.0, -v[30:31]
	v_fma_f64 v[4:5], v[4:5], 2.0, -v[32:33]
	v_fma_f64 v[6:7], v[6:7], 2.0, -v[34:35]
	ds_write_b128 v102, v[8:11] offset:7056
	ds_write_b128 v102, v[36:39]
	ds_write_b128 v117, v[0:3]
	ds_write_b128 v117, v[12:15] offset:7056
	ds_write_b128 v116, v[40:43] offset:2016
	;; [unrolled: 1-line block ×11, first 2 shown]
	s_waitcnt lgkmcnt(0)
	s_barrier
	buffer_gl0_inv
	s_and_saveexec_b32 s0, vcc_lo
	s_cbranch_execz .LBB0_17
; %bb.16:
	v_mad_u64_u32 v[8:9], null, s2, v96, 0
	v_mad_u64_u32 v[10:11], null, s2, v113, 0
	;; [unrolled: 1-line block ×4, first 2 shown]
	v_mov_b32_e32 v0, v9
	v_add_co_u32 v33, vcc_lo, s12, v98
	v_add_co_ci_u32_e32 v34, vcc_lo, s13, v99, vcc_lo
	v_mad_u64_u32 v[0:1], null, s3, v96, v[0:1]
	v_mov_b32_e32 v1, v11
	v_mov_b32_e32 v11, v13
	v_mad_u64_u32 v[20:21], null, s2, v112, 0
	v_mad_u64_u32 v[26:27], null, s2, v111, 0
	v_mov_b32_e32 v9, v0
	v_mad_u64_u32 v[13:14], null, s3, v113, v[1:2]
	v_mov_b32_e32 v14, v17
	v_mad_u64_u32 v[17:18], null, s3, v114, v[11:12]
	v_lshlrev_b64 v[8:9], 4, v[8:9]
	ds_read_b128 v[0:3], v102
	ds_read_b128 v[4:7], v102 offset:1008
	v_mad_u64_u32 v[14:15], null, s3, v115, v[14:15]
	v_mov_b32_e32 v11, v13
	v_add_co_u32 v18, vcc_lo, v33, v8
	v_add_co_ci_u32_e32 v19, vcc_lo, v34, v9, vcc_lo
	v_lshlrev_b64 v[8:9], 4, v[10:11]
	v_mov_b32_e32 v13, v17
	v_mov_b32_e32 v17, v14
	v_add_co_u32 v22, vcc_lo, v33, v8
	v_add_co_ci_u32_e32 v23, vcc_lo, v34, v9, vcc_lo
	v_lshlrev_b64 v[24:25], 4, v[12:13]
	ds_read_b128 v[8:11], v102 offset:2016
	ds_read_b128 v[12:15], v102 offset:3024
	v_lshlrev_b64 v[16:17], 4, v[16:17]
	v_mad_u64_u32 v[28:29], null, s3, v112, v[21:22]
	v_mad_u64_u32 v[29:30], null, s2, v110, 0
	v_add_co_u32 v24, vcc_lo, v33, v24
	v_add_co_ci_u32_e32 v25, vcc_lo, v34, v25, vcc_lo
	v_mov_b32_e32 v21, v27
	v_add_co_u32 v16, vcc_lo, v33, v16
	v_add_co_ci_u32_e32 v17, vcc_lo, v34, v17, vcc_lo
	v_mad_u64_u32 v[31:32], null, s3, v111, v[21:22]
	v_mov_b32_e32 v21, v28
	s_waitcnt lgkmcnt(3)
	global_store_dwordx4 v[18:19], v[0:3], off
	s_waitcnt lgkmcnt(2)
	global_store_dwordx4 v[22:23], v[4:7], off
	;; [unrolled: 2-line block ×4, first 2 shown]
	v_mov_b32_e32 v10, v30
	v_lshlrev_b64 v[8:9], 4, v[20:21]
	ds_read_b128 v[0:3], v102 offset:4032
	ds_read_b128 v[4:7], v102 offset:5040
	v_mov_b32_e32 v27, v31
	v_mad_u64_u32 v[12:13], null, s2, v108, 0
	v_mad_u64_u32 v[10:11], null, s3, v110, v[10:11]
	v_add_co_u32 v14, vcc_lo, v33, v8
	v_add_co_ci_u32_e32 v15, vcc_lo, v34, v9, vcc_lo
	v_lshlrev_b64 v[16:17], 4, v[26:27]
	v_mad_u64_u32 v[18:19], null, s2, v109, 0
	v_mov_b32_e32 v30, v10
	ds_read_b128 v[8:11], v102 offset:6048
	v_mad_u64_u32 v[22:23], null, s3, v108, v[13:14]
	v_add_co_u32 v16, vcc_lo, v33, v16
	v_lshlrev_b64 v[20:21], 4, v[29:30]
	v_add_co_ci_u32_e32 v17, vcc_lo, v34, v17, vcc_lo
	s_waitcnt lgkmcnt(2)
	global_store_dwordx4 v[14:15], v[0:3], off
	s_waitcnt lgkmcnt(1)
	global_store_dwordx4 v[16:17], v[4:7], off
	v_add_co_u32 v4, vcc_lo, v33, v20
	v_mad_u64_u32 v[23:24], null, s3, v109, v[19:20]
	v_add_co_ci_u32_e32 v5, vcc_lo, v34, v21, vcc_lo
	v_mov_b32_e32 v13, v22
	v_mad_u64_u32 v[14:15], null, s2, v107, 0
	ds_read_b128 v[0:3], v102 offset:7056
	s_waitcnt lgkmcnt(1)
	global_store_dwordx4 v[4:5], v[8:11], off
	ds_read_b128 v[4:7], v102 offset:8064
	v_lshlrev_b64 v[8:9], 4, v[12:13]
	v_mad_u64_u32 v[12:13], null, s2, v106, 0
	v_mov_b32_e32 v19, v23
	v_mad_u64_u32 v[15:16], null, s3, v107, v[15:16]
	v_add_co_u32 v8, vcc_lo, v33, v8
	v_lshlrev_b64 v[10:11], 4, v[18:19]
	v_mad_u64_u32 v[16:17], null, s3, v106, v[13:14]
	v_add_co_ci_u32_e32 v9, vcc_lo, v34, v9, vcc_lo
	v_mad_u64_u32 v[17:18], null, s2, v104, 0
	v_add_co_u32 v10, vcc_lo, v33, v10
	v_add_co_ci_u32_e32 v11, vcc_lo, v34, v11, vcc_lo
	v_mov_b32_e32 v13, v16
	s_waitcnt lgkmcnt(1)
	global_store_dwordx4 v[8:9], v[0:3], off
	v_mad_u64_u32 v[20:21], null, s2, v105, 0
	s_waitcnt lgkmcnt(0)
	global_store_dwordx4 v[10:11], v[4:7], off
	v_lshlrev_b64 v[4:5], 4, v[14:15]
	v_lshlrev_b64 v[7:8], 4, v[12:13]
	v_mov_b32_e32 v6, v18
	v_mad_u64_u32 v[22:23], null, s2, v103, 0
	ds_read_b128 v[0:3], v102 offset:9072
	v_add_co_u32 v24, vcc_lo, v33, v4
	v_add_co_ci_u32_e32 v25, vcc_lo, v34, v5, vcc_lo
	v_mad_u64_u32 v[5:6], null, s3, v104, v[6:7]
	v_mov_b32_e32 v4, v21
	v_add_co_u32 v26, vcc_lo, v33, v7
	v_add_co_ci_u32_e32 v27, vcc_lo, v34, v8, vcc_lo
	v_mad_u64_u32 v[9:10], null, s3, v105, v[4:5]
	v_mov_b32_e32 v4, v23
	v_mov_b32_e32 v18, v5
	v_mad_u64_u32 v[28:29], null, s3, v103, v[4:5]
	v_mov_b32_e32 v21, v9
	ds_read_b128 v[4:7], v102 offset:10080
	ds_read_b128 v[8:11], v102 offset:11088
	v_lshlrev_b64 v[29:30], 4, v[17:18]
	ds_read_b128 v[12:15], v102 offset:12096
	ds_read_b128 v[16:19], v102 offset:13104
	v_lshlrev_b64 v[20:21], 4, v[20:21]
	v_mov_b32_e32 v23, v28
	v_add_co_u32 v28, vcc_lo, v33, v29
	v_add_co_ci_u32_e32 v29, vcc_lo, v34, v30, vcc_lo
	v_lshlrev_b64 v[22:23], 4, v[22:23]
	v_add_co_u32 v20, vcc_lo, v33, v20
	v_add_co_ci_u32_e32 v21, vcc_lo, v34, v21, vcc_lo
	v_add_co_u32 v22, vcc_lo, v33, v22
	v_add_co_ci_u32_e32 v23, vcc_lo, v34, v23, vcc_lo
	s_waitcnt lgkmcnt(4)
	global_store_dwordx4 v[24:25], v[0:3], off
	s_waitcnt lgkmcnt(3)
	global_store_dwordx4 v[26:27], v[4:7], off
	;; [unrolled: 2-line block ×5, first 2 shown]
.LBB0_17:
	s_endpgm
	.section	.rodata,"a",@progbits
	.p2align	6, 0x0
	.amdhsa_kernel fft_rtc_back_len882_factors_9_7_7_2_wgs_63_tpt_63_dp_ip_CI_sbrr_dirReg
		.amdhsa_group_segment_fixed_size 0
		.amdhsa_private_segment_fixed_size 0
		.amdhsa_kernarg_size 88
		.amdhsa_user_sgpr_count 6
		.amdhsa_user_sgpr_private_segment_buffer 1
		.amdhsa_user_sgpr_dispatch_ptr 0
		.amdhsa_user_sgpr_queue_ptr 0
		.amdhsa_user_sgpr_kernarg_segment_ptr 1
		.amdhsa_user_sgpr_dispatch_id 0
		.amdhsa_user_sgpr_flat_scratch_init 0
		.amdhsa_user_sgpr_private_segment_size 0
		.amdhsa_wavefront_size32 1
		.amdhsa_uses_dynamic_stack 0
		.amdhsa_system_sgpr_private_segment_wavefront_offset 0
		.amdhsa_system_sgpr_workgroup_id_x 1
		.amdhsa_system_sgpr_workgroup_id_y 0
		.amdhsa_system_sgpr_workgroup_id_z 0
		.amdhsa_system_sgpr_workgroup_info 0
		.amdhsa_system_vgpr_workitem_id 0
		.amdhsa_next_free_vgpr 140
		.amdhsa_next_free_sgpr 28
		.amdhsa_reserve_vcc 1
		.amdhsa_reserve_flat_scratch 0
		.amdhsa_float_round_mode_32 0
		.amdhsa_float_round_mode_16_64 0
		.amdhsa_float_denorm_mode_32 3
		.amdhsa_float_denorm_mode_16_64 3
		.amdhsa_dx10_clamp 1
		.amdhsa_ieee_mode 1
		.amdhsa_fp16_overflow 0
		.amdhsa_workgroup_processor_mode 1
		.amdhsa_memory_ordered 1
		.amdhsa_forward_progress 0
		.amdhsa_shared_vgpr_count 0
		.amdhsa_exception_fp_ieee_invalid_op 0
		.amdhsa_exception_fp_denorm_src 0
		.amdhsa_exception_fp_ieee_div_zero 0
		.amdhsa_exception_fp_ieee_overflow 0
		.amdhsa_exception_fp_ieee_underflow 0
		.amdhsa_exception_fp_ieee_inexact 0
		.amdhsa_exception_int_div_zero 0
	.end_amdhsa_kernel
	.text
.Lfunc_end0:
	.size	fft_rtc_back_len882_factors_9_7_7_2_wgs_63_tpt_63_dp_ip_CI_sbrr_dirReg, .Lfunc_end0-fft_rtc_back_len882_factors_9_7_7_2_wgs_63_tpt_63_dp_ip_CI_sbrr_dirReg
                                        ; -- End function
	.section	.AMDGPU.csdata,"",@progbits
; Kernel info:
; codeLenInByte = 10576
; NumSgprs: 30
; NumVgprs: 140
; ScratchSize: 0
; MemoryBound: 0
; FloatMode: 240
; IeeeMode: 1
; LDSByteSize: 0 bytes/workgroup (compile time only)
; SGPRBlocks: 3
; VGPRBlocks: 17
; NumSGPRsForWavesPerEU: 30
; NumVGPRsForWavesPerEU: 140
; Occupancy: 7
; WaveLimiterHint : 1
; COMPUTE_PGM_RSRC2:SCRATCH_EN: 0
; COMPUTE_PGM_RSRC2:USER_SGPR: 6
; COMPUTE_PGM_RSRC2:TRAP_HANDLER: 0
; COMPUTE_PGM_RSRC2:TGID_X_EN: 1
; COMPUTE_PGM_RSRC2:TGID_Y_EN: 0
; COMPUTE_PGM_RSRC2:TGID_Z_EN: 0
; COMPUTE_PGM_RSRC2:TIDIG_COMP_CNT: 0
	.text
	.p2alignl 6, 3214868480
	.fill 48, 4, 3214868480
	.type	__hip_cuid_3e7525a72679dd63,@object ; @__hip_cuid_3e7525a72679dd63
	.section	.bss,"aw",@nobits
	.globl	__hip_cuid_3e7525a72679dd63
__hip_cuid_3e7525a72679dd63:
	.byte	0                               ; 0x0
	.size	__hip_cuid_3e7525a72679dd63, 1

	.ident	"AMD clang version 19.0.0git (https://github.com/RadeonOpenCompute/llvm-project roc-6.4.0 25133 c7fe45cf4b819c5991fe208aaa96edf142730f1d)"
	.section	".note.GNU-stack","",@progbits
	.addrsig
	.addrsig_sym __hip_cuid_3e7525a72679dd63
	.amdgpu_metadata
---
amdhsa.kernels:
  - .args:
      - .actual_access:  read_only
        .address_space:  global
        .offset:         0
        .size:           8
        .value_kind:     global_buffer
      - .offset:         8
        .size:           8
        .value_kind:     by_value
      - .actual_access:  read_only
        .address_space:  global
        .offset:         16
        .size:           8
        .value_kind:     global_buffer
      - .actual_access:  read_only
        .address_space:  global
        .offset:         24
        .size:           8
        .value_kind:     global_buffer
      - .offset:         32
        .size:           8
        .value_kind:     by_value
      - .actual_access:  read_only
        .address_space:  global
        .offset:         40
        .size:           8
        .value_kind:     global_buffer
      - .actual_access:  read_only
        .address_space:  global
        .offset:         48
        .size:           8
        .value_kind:     global_buffer
      - .offset:         56
        .size:           4
        .value_kind:     by_value
      - .actual_access:  read_only
        .address_space:  global
        .offset:         64
        .size:           8
        .value_kind:     global_buffer
      - .actual_access:  read_only
        .address_space:  global
        .offset:         72
        .size:           8
        .value_kind:     global_buffer
      - .address_space:  global
        .offset:         80
        .size:           8
        .value_kind:     global_buffer
    .group_segment_fixed_size: 0
    .kernarg_segment_align: 8
    .kernarg_segment_size: 88
    .language:       OpenCL C
    .language_version:
      - 2
      - 0
    .max_flat_workgroup_size: 63
    .name:           fft_rtc_back_len882_factors_9_7_7_2_wgs_63_tpt_63_dp_ip_CI_sbrr_dirReg
    .private_segment_fixed_size: 0
    .sgpr_count:     30
    .sgpr_spill_count: 0
    .symbol:         fft_rtc_back_len882_factors_9_7_7_2_wgs_63_tpt_63_dp_ip_CI_sbrr_dirReg.kd
    .uniform_work_group_size: 1
    .uses_dynamic_stack: false
    .vgpr_count:     140
    .vgpr_spill_count: 0
    .wavefront_size: 32
    .workgroup_processor_mode: 1
amdhsa.target:   amdgcn-amd-amdhsa--gfx1030
amdhsa.version:
  - 1
  - 2
...

	.end_amdgpu_metadata
